;; amdgpu-corpus repo=zjin-lcf/HeCBench kind=compiled arch=gfx1100 opt=O3
	.text
	.amdgcn_target "amdgcn-amd-amdhsa--gfx1100"
	.amdhsa_code_object_version 6
	.protected	_Z34MerklizeRescuePrimeApproach1Phase0mPKmPmPK15HIP_vector_typeImLj4EES5_S5_ ; -- Begin function _Z34MerklizeRescuePrimeApproach1Phase0mPKmPmPK15HIP_vector_typeImLj4EES5_S5_
	.globl	_Z34MerklizeRescuePrimeApproach1Phase0mPKmPmPK15HIP_vector_typeImLj4EES5_S5_
	.p2align	8
	.type	_Z34MerklizeRescuePrimeApproach1Phase0mPKmPmPK15HIP_vector_typeImLj4EES5_S5_,@function
_Z34MerklizeRescuePrimeApproach1Phase0mPKmPmPK15HIP_vector_typeImLj4EES5_S5_: ; @_Z34MerklizeRescuePrimeApproach1Phase0mPKmPmPK15HIP_vector_typeImLj4EES5_S5_
; %bb.0:
	s_mov_b64 s[10:11], s[4:5]
	s_clause 0x2
	s_load_b32 s4, s[2:3], 0x3c
	s_load_b256 s[16:23], s[2:3], 0x0
	s_load_b128 s[24:27], s[2:3], 0x20
	v_and_b32_e32 v1, 0x3ff, v0
	s_mov_b32 s12, s13
	v_mov_b32_e32 v31, v0
	s_mov_b32 s13, s14
	s_mov_b32 s14, s15
	;; [unrolled: 1-line block ×3, first 2 shown]
	s_waitcnt lgkmcnt(0)
	s_and_b32 s4, s4, 0xffff
	s_add_u32 s8, s2, 48
	v_mov_b32_e32 v8, s26
	v_mad_u64_u32 v[2:3], null, s12, s4, v[1:2]
	v_dual_mov_b32 v3, 0 :: v_dual_mov_b32 v6, s24
	v_mov_b32_e32 v7, s25
	s_addc_u32 s9, s3, 0
	s_mov_b64 s[4:5], s[0:1]
	s_delay_alu instid0(VALU_DEP_3) | instskip(NEXT) | instid1(VALU_DEP_1)
	v_add_co_u32 v4, s2, v2, s16
	v_add_co_ci_u32_e64 v5, null, 0, s17, s2
	v_lshlrev_b64 v[1:2], 4, v[2:3]
	s_getpc_b64 s[2:3]
	s_add_u32 s2, s2, _Z5mergePKmPmPK15HIP_vector_typeImLj4EES5_S5_@rel32@lo+4
	s_addc_u32 s3, s3, _Z5mergePKmPmPK15HIP_vector_typeImLj4EES5_S5_@rel32@hi+12
	v_lshlrev_b64 v[3:4], 5, v[4:5]
	s_delay_alu instid0(VALU_DEP_2) | instskip(SKIP_1) | instid1(VALU_DEP_3)
	v_add_co_u32 v9, vcc_lo, s18, v1
	v_add_co_ci_u32_e32 v1, vcc_lo, s19, v2, vcc_lo
	v_add_co_u32 v2, vcc_lo, s20, v3
	s_delay_alu instid0(VALU_DEP_4)
	v_add_co_ci_u32_e32 v3, vcc_lo, s21, v4, vcc_lo
	v_dual_mov_b32 v4, s22 :: v_dual_mov_b32 v5, s23
	v_dual_mov_b32 v0, v9 :: v_dual_mov_b32 v9, s27
	s_swappc_b64 s[30:31], s[2:3]
	s_endpgm
	.section	.rodata,"a",@progbits
	.p2align	6, 0x0
	.amdhsa_kernel _Z34MerklizeRescuePrimeApproach1Phase0mPKmPmPK15HIP_vector_typeImLj4EES5_S5_
		.amdhsa_group_segment_fixed_size 0
		.amdhsa_private_segment_fixed_size 0
		.amdhsa_kernarg_size 304
		.amdhsa_user_sgpr_count 13
		.amdhsa_user_sgpr_dispatch_ptr 1
		.amdhsa_user_sgpr_queue_ptr 0
		.amdhsa_user_sgpr_kernarg_segment_ptr 1
		.amdhsa_user_sgpr_dispatch_id 1
		.amdhsa_user_sgpr_private_segment_size 0
		.amdhsa_wavefront_size32 1
		.amdhsa_uses_dynamic_stack 1
		.amdhsa_enable_private_segment 1
		.amdhsa_system_sgpr_workgroup_id_x 1
		.amdhsa_system_sgpr_workgroup_id_y 1
		.amdhsa_system_sgpr_workgroup_id_z 1
		.amdhsa_system_sgpr_workgroup_info 0
		.amdhsa_system_vgpr_workitem_id 2
		.amdhsa_next_free_vgpr 32
		.amdhsa_next_free_sgpr 33
		.amdhsa_reserve_vcc 1
		.amdhsa_float_round_mode_32 0
		.amdhsa_float_round_mode_16_64 0
		.amdhsa_float_denorm_mode_32 3
		.amdhsa_float_denorm_mode_16_64 3
		.amdhsa_dx10_clamp 1
		.amdhsa_ieee_mode 1
		.amdhsa_fp16_overflow 0
		.amdhsa_workgroup_processor_mode 1
		.amdhsa_memory_ordered 1
		.amdhsa_forward_progress 0
		.amdhsa_shared_vgpr_count 0
		.amdhsa_exception_fp_ieee_invalid_op 0
		.amdhsa_exception_fp_denorm_src 0
		.amdhsa_exception_fp_ieee_div_zero 0
		.amdhsa_exception_fp_ieee_overflow 0
		.amdhsa_exception_fp_ieee_underflow 0
		.amdhsa_exception_fp_ieee_inexact 0
		.amdhsa_exception_int_div_zero 0
	.end_amdhsa_kernel
	.text
.Lfunc_end0:
	.size	_Z34MerklizeRescuePrimeApproach1Phase0mPKmPmPK15HIP_vector_typeImLj4EES5_S5_, .Lfunc_end0-_Z34MerklizeRescuePrimeApproach1Phase0mPKmPmPK15HIP_vector_typeImLj4EES5_S5_
                                        ; -- End function
	.section	.AMDGPU.csdata,"",@progbits
; Kernel info:
; codeLenInByte = 220
; NumSgprs: 35
; NumVgprs: 32
; ScratchSize: 0
; MemoryBound: 0
; FloatMode: 240
; IeeeMode: 1
; LDSByteSize: 0 bytes/workgroup (compile time only)
; SGPRBlocks: 4
; VGPRBlocks: 3
; NumSGPRsForWavesPerEU: 35
; NumVGPRsForWavesPerEU: 32
; Occupancy: 16
; WaveLimiterHint : 0
; COMPUTE_PGM_RSRC2:SCRATCH_EN: 1
; COMPUTE_PGM_RSRC2:USER_SGPR: 13
; COMPUTE_PGM_RSRC2:TRAP_HANDLER: 0
; COMPUTE_PGM_RSRC2:TGID_X_EN: 1
; COMPUTE_PGM_RSRC2:TGID_Y_EN: 1
; COMPUTE_PGM_RSRC2:TGID_Z_EN: 1
; COMPUTE_PGM_RSRC2:TIDIG_COMP_CNT: 2
	.text
	.protected	_Z34MerklizeRescuePrimeApproach1Phase1mPmPK15HIP_vector_typeImLj4EES3_S3_ ; -- Begin function _Z34MerklizeRescuePrimeApproach1Phase1mPmPK15HIP_vector_typeImLj4EES3_S3_
	.globl	_Z34MerklizeRescuePrimeApproach1Phase1mPmPK15HIP_vector_typeImLj4EES3_S3_
	.p2align	8
	.type	_Z34MerklizeRescuePrimeApproach1Phase1mPmPK15HIP_vector_typeImLj4EES3_S3_,@function
_Z34MerklizeRescuePrimeApproach1Phase1mPmPK15HIP_vector_typeImLj4EES3_S3_: ; @_Z34MerklizeRescuePrimeApproach1Phase1mPmPK15HIP_vector_typeImLj4EES3_S3_
; %bb.0:
	s_mov_b64 s[10:11], s[4:5]
	s_clause 0x1
	s_load_b32 s4, s[2:3], 0x34
	s_load_b256 s[16:23], s[2:3], 0x0
	v_and_b32_e32 v1, 0x3ff, v0
	s_mov_b32 s12, s13
	s_load_b64 s[6:7], s[2:3], 0x20
	v_mov_b32_e32 v31, v0
	s_mov_b32 s13, s14
	s_mov_b32 s14, s15
	s_mov_b32 s32, 0
	s_waitcnt lgkmcnt(0)
	s_and_b32 s4, s4, 0xffff
	v_mov_b32_e32 v7, s23
	v_mad_u64_u32 v[2:3], null, s12, s4, v[1:2]
	v_mov_b32_e32 v8, s6
	s_lshl_b64 s[4:5], s[16:17], 6
	v_dual_mov_b32 v3, 0 :: v_dual_mov_b32 v6, s22
	s_add_u32 s4, s18, s4
	s_addc_u32 s5, s19, s5
	s_add_u32 s8, s2, 40
	s_delay_alu instid0(VALU_DEP_3) | instskip(NEXT) | instid1(VALU_DEP_1)
	v_add_co_u32 v4, s2, v2, s16
	v_add_co_ci_u32_e64 v5, null, 0, s17, s2
	v_lshlrev_b64 v[1:2], 4, v[2:3]
	s_addc_u32 s9, s3, 0
	s_getpc_b64 s[2:3]
	s_add_u32 s2, s2, _Z5mergePKmPmPK15HIP_vector_typeImLj4EES5_S5_@rel32@lo+4
	s_addc_u32 s3, s3, _Z5mergePKmPmPK15HIP_vector_typeImLj4EES5_S5_@rel32@hi+12
	v_lshlrev_b64 v[3:4], 5, v[4:5]
	v_add_co_u32 v9, vcc_lo, s4, v1
	v_add_co_ci_u32_e32 v1, vcc_lo, s5, v2, vcc_lo
	s_delay_alu instid0(VALU_DEP_3) | instskip(NEXT) | instid1(VALU_DEP_4)
	v_add_co_u32 v2, vcc_lo, s18, v3
	v_add_co_ci_u32_e32 v3, vcc_lo, s19, v4, vcc_lo
	v_dual_mov_b32 v4, s20 :: v_dual_mov_b32 v5, s21
	v_dual_mov_b32 v0, v9 :: v_dual_mov_b32 v9, s7
	s_mov_b64 s[4:5], s[0:1]
	s_swappc_b64 s[30:31], s[2:3]
	s_endpgm
	.section	.rodata,"a",@progbits
	.p2align	6, 0x0
	.amdhsa_kernel _Z34MerklizeRescuePrimeApproach1Phase1mPmPK15HIP_vector_typeImLj4EES3_S3_
		.amdhsa_group_segment_fixed_size 0
		.amdhsa_private_segment_fixed_size 0
		.amdhsa_kernarg_size 296
		.amdhsa_user_sgpr_count 13
		.amdhsa_user_sgpr_dispatch_ptr 1
		.amdhsa_user_sgpr_queue_ptr 0
		.amdhsa_user_sgpr_kernarg_segment_ptr 1
		.amdhsa_user_sgpr_dispatch_id 1
		.amdhsa_user_sgpr_private_segment_size 0
		.amdhsa_wavefront_size32 1
		.amdhsa_uses_dynamic_stack 1
		.amdhsa_enable_private_segment 1
		.amdhsa_system_sgpr_workgroup_id_x 1
		.amdhsa_system_sgpr_workgroup_id_y 1
		.amdhsa_system_sgpr_workgroup_id_z 1
		.amdhsa_system_sgpr_workgroup_info 0
		.amdhsa_system_vgpr_workitem_id 2
		.amdhsa_next_free_vgpr 32
		.amdhsa_next_free_sgpr 33
		.amdhsa_reserve_vcc 1
		.amdhsa_float_round_mode_32 0
		.amdhsa_float_round_mode_16_64 0
		.amdhsa_float_denorm_mode_32 3
		.amdhsa_float_denorm_mode_16_64 3
		.amdhsa_dx10_clamp 1
		.amdhsa_ieee_mode 1
		.amdhsa_fp16_overflow 0
		.amdhsa_workgroup_processor_mode 1
		.amdhsa_memory_ordered 1
		.amdhsa_forward_progress 0
		.amdhsa_shared_vgpr_count 0
		.amdhsa_exception_fp_ieee_invalid_op 0
		.amdhsa_exception_fp_denorm_src 0
		.amdhsa_exception_fp_ieee_div_zero 0
		.amdhsa_exception_fp_ieee_overflow 0
		.amdhsa_exception_fp_ieee_underflow 0
		.amdhsa_exception_fp_ieee_inexact 0
		.amdhsa_exception_int_div_zero 0
	.end_amdhsa_kernel
	.text
.Lfunc_end1:
	.size	_Z34MerklizeRescuePrimeApproach1Phase1mPmPK15HIP_vector_typeImLj4EES3_S3_, .Lfunc_end1-_Z34MerklizeRescuePrimeApproach1Phase1mPmPK15HIP_vector_typeImLj4EES3_S3_
                                        ; -- End function
	.section	.AMDGPU.csdata,"",@progbits
; Kernel info:
; codeLenInByte = 228
; NumSgprs: 35
; NumVgprs: 32
; ScratchSize: 0
; MemoryBound: 0
; FloatMode: 240
; IeeeMode: 1
; LDSByteSize: 0 bytes/workgroup (compile time only)
; SGPRBlocks: 4
; VGPRBlocks: 3
; NumSGPRsForWavesPerEU: 35
; NumVGPRsForWavesPerEU: 32
; Occupancy: 16
; WaveLimiterHint : 0
; COMPUTE_PGM_RSRC2:SCRATCH_EN: 1
; COMPUTE_PGM_RSRC2:USER_SGPR: 13
; COMPUTE_PGM_RSRC2:TRAP_HANDLER: 0
; COMPUTE_PGM_RSRC2:TGID_X_EN: 1
; COMPUTE_PGM_RSRC2:TGID_Y_EN: 1
; COMPUTE_PGM_RSRC2:TGID_Z_EN: 1
; COMPUTE_PGM_RSRC2:TIDIG_COMP_CNT: 2
	.text
	.p2alignl 7, 3214868480
	.fill 96, 4, 3214868480
	.type	__hip_cuid_9ce2e088b887de88,@object ; @__hip_cuid_9ce2e088b887de88
	.section	.bss,"aw",@nobits
	.globl	__hip_cuid_9ce2e088b887de88
__hip_cuid_9ce2e088b887de88:
	.byte	0                               ; 0x0
	.size	__hip_cuid_9ce2e088b887de88, 1

	.hidden	_Z5mergePKmPmPK15HIP_vector_typeImLj4EES5_S5_
	.ident	"AMD clang version 19.0.0git (https://github.com/RadeonOpenCompute/llvm-project roc-6.4.0 25133 c7fe45cf4b819c5991fe208aaa96edf142730f1d)"
	.section	".note.GNU-stack","",@progbits
	.addrsig
	.addrsig_sym __hip_cuid_9ce2e088b887de88
	.amdgpu_metadata
---
amdhsa.kernels:
  - .args:
      - .offset:         0
        .size:           8
        .value_kind:     by_value
      - .address_space:  global
        .offset:         8
        .size:           8
        .value_kind:     global_buffer
      - .address_space:  global
        .offset:         16
        .size:           8
        .value_kind:     global_buffer
      - .address_space:  global
        .offset:         24
        .size:           8
        .value_kind:     global_buffer
      - .address_space:  global
        .offset:         32
        .size:           8
        .value_kind:     global_buffer
      - .address_space:  global
        .offset:         40
        .size:           8
        .value_kind:     global_buffer
      - .offset:         48
        .size:           4
        .value_kind:     hidden_block_count_x
      - .offset:         52
        .size:           4
        .value_kind:     hidden_block_count_y
      - .offset:         56
        .size:           4
        .value_kind:     hidden_block_count_z
      - .offset:         60
        .size:           2
        .value_kind:     hidden_group_size_x
      - .offset:         62
        .size:           2
        .value_kind:     hidden_group_size_y
      - .offset:         64
        .size:           2
        .value_kind:     hidden_group_size_z
      - .offset:         66
        .size:           2
        .value_kind:     hidden_remainder_x
      - .offset:         68
        .size:           2
        .value_kind:     hidden_remainder_y
      - .offset:         70
        .size:           2
        .value_kind:     hidden_remainder_z
      - .offset:         88
        .size:           8
        .value_kind:     hidden_global_offset_x
      - .offset:         96
        .size:           8
        .value_kind:     hidden_global_offset_y
      - .offset:         104
        .size:           8
        .value_kind:     hidden_global_offset_z
      - .offset:         112
        .size:           2
        .value_kind:     hidden_grid_dims
      - .offset:         128
        .size:           8
        .value_kind:     hidden_hostcall_buffer
      - .offset:         136
        .size:           8
        .value_kind:     hidden_multigrid_sync_arg
      - .offset:         144
        .size:           8
        .value_kind:     hidden_heap_v1
      - .offset:         152
        .size:           8
        .value_kind:     hidden_default_queue
      - .offset:         160
        .size:           8
        .value_kind:     hidden_completion_action
      - .offset:         248
        .size:           8
        .value_kind:     hidden_queue_ptr
    .group_segment_fixed_size: 0
    .kernarg_segment_align: 8
    .kernarg_segment_size: 304
    .language:       OpenCL C
    .language_version:
      - 2
      - 0
    .max_flat_workgroup_size: 1024
    .name:           _Z34MerklizeRescuePrimeApproach1Phase0mPKmPmPK15HIP_vector_typeImLj4EES5_S5_
    .private_segment_fixed_size: 0
    .sgpr_count:     35
    .sgpr_spill_count: 0
    .symbol:         _Z34MerklizeRescuePrimeApproach1Phase0mPKmPmPK15HIP_vector_typeImLj4EES5_S5_.kd
    .uniform_work_group_size: 1
    .uses_dynamic_stack: true
    .vgpr_count:     32
    .vgpr_spill_count: 0
    .wavefront_size: 32
    .workgroup_processor_mode: 1
  - .args:
      - .offset:         0
        .size:           8
        .value_kind:     by_value
      - .address_space:  global
        .offset:         8
        .size:           8
        .value_kind:     global_buffer
      - .address_space:  global
        .offset:         16
        .size:           8
        .value_kind:     global_buffer
      - .address_space:  global
        .offset:         24
        .size:           8
        .value_kind:     global_buffer
      - .address_space:  global
        .offset:         32
        .size:           8
        .value_kind:     global_buffer
      - .offset:         40
        .size:           4
        .value_kind:     hidden_block_count_x
      - .offset:         44
        .size:           4
        .value_kind:     hidden_block_count_y
      - .offset:         48
        .size:           4
        .value_kind:     hidden_block_count_z
      - .offset:         52
        .size:           2
        .value_kind:     hidden_group_size_x
      - .offset:         54
        .size:           2
        .value_kind:     hidden_group_size_y
      - .offset:         56
        .size:           2
        .value_kind:     hidden_group_size_z
      - .offset:         58
        .size:           2
        .value_kind:     hidden_remainder_x
      - .offset:         60
        .size:           2
        .value_kind:     hidden_remainder_y
      - .offset:         62
        .size:           2
        .value_kind:     hidden_remainder_z
      - .offset:         80
        .size:           8
        .value_kind:     hidden_global_offset_x
      - .offset:         88
        .size:           8
        .value_kind:     hidden_global_offset_y
      - .offset:         96
        .size:           8
        .value_kind:     hidden_global_offset_z
      - .offset:         104
        .size:           2
        .value_kind:     hidden_grid_dims
      - .offset:         120
        .size:           8
        .value_kind:     hidden_hostcall_buffer
      - .offset:         128
        .size:           8
        .value_kind:     hidden_multigrid_sync_arg
      - .offset:         136
        .size:           8
        .value_kind:     hidden_heap_v1
      - .offset:         144
        .size:           8
        .value_kind:     hidden_default_queue
      - .offset:         152
        .size:           8
        .value_kind:     hidden_completion_action
      - .offset:         240
        .size:           8
        .value_kind:     hidden_queue_ptr
    .group_segment_fixed_size: 0
    .kernarg_segment_align: 8
    .kernarg_segment_size: 296
    .language:       OpenCL C
    .language_version:
      - 2
      - 0
    .max_flat_workgroup_size: 1024
    .name:           _Z34MerklizeRescuePrimeApproach1Phase1mPmPK15HIP_vector_typeImLj4EES3_S3_
    .private_segment_fixed_size: 0
    .sgpr_count:     35
    .sgpr_spill_count: 0
    .symbol:         _Z34MerklizeRescuePrimeApproach1Phase1mPmPK15HIP_vector_typeImLj4EES3_S3_.kd
    .uniform_work_group_size: 1
    .uses_dynamic_stack: true
    .vgpr_count:     32
    .vgpr_spill_count: 0
    .wavefront_size: 32
    .workgroup_processor_mode: 1
amdhsa.target:   amdgcn-amd-amdhsa--gfx1100
amdhsa.version:
  - 1
  - 2
...

	.end_amdgpu_metadata
